;; amdgpu-corpus repo=ROCm/aiter kind=harvested arch=n/a opt=n/a

/root/src/amdgpu-assembly/repos/ROCm__aiter/hsa/gfx950/fmha_v3_bwd/bwd_hd128_dq_shuffle.co:	file format elf64-amdgpu

Disassembly of section .text:

0000000000002100 <_ZN5aiter25fmha_bwd_hd128_dq_shuffleE>:
	s_and_b32 s1, s1, 0xffff                                   // 000000002100: 8601FF01 0000FFFF
	s_load_dwordx2 s[12:13], s[0:1], 0x0                       // 000000002108: C0060300 00000000
	s_load_dwordx2 s[16:17], s[0:1], 0x10                      // 000000002110: C0060400 00000010
	s_load_dword s6, s[0:1], 0x20                              // 000000002118: C0020180 00000020
	s_load_dword s7, s[0:1], 0x30                              // 000000002120: C00201C0 00000030
	s_load_dword s8, s[0:1], 0x40                              // 000000002128: C0020200 00000040
	s_load_dword s9, s[0:1], 0x50                              // 000000002130: C0020240 00000050
	s_load_dword s11, s[0:1], 0x70                             // 000000002138: C00202C0 00000070
	s_load_dword s32, s[0:1], 0x90                             // 000000002140: C0020800 00000090
	s_load_dword s10, s[0:1], 0x60                             // 000000002148: C0020280 00000060
	s_load_dword s30, s[0:1], 0x80                             // 000000002150: C0020780 00000080
	v_lshrrev_b32_e32 v1, 10, v0                               // 000000002158: 2002008A
	v_lshrrev_b32_e32 v2, 10, v1                               // 00000000215C: 2004028A
	v_and_b32_e32 v2, 0x3ff, v2                                // 000000002160: 260404FF 000003FF
	v_and_b32_e32 v1, 0x3ff, v1                                // 000000002168: 260202FF 000003FF
	v_and_b32_e32 v0, 0x3ff, v0                                // 000000002170: 260000FF 000003FF
	v_lshrrev_b32_e32 v3, 6, v0                                // 000000002178: 20060086
	v_and_b32_e32 v0, 63, v0                                   // 00000000217C: 260000BF
	s_mov_b32 s2, s2                                           // 000000002180: BE820002
	s_mov_b32 s3, s3                                           // 000000002184: BE830003
	s_mov_b32 s4, s4                                           // 000000002188: BE840004
	v_readfirstlane_b32 s24, v3                                // 00000000218C: 7E300503
	s_waitcnt lgkmcnt(0)                                       // 000000002190: BF8CC07F
	s_mov_b32 s15, 0x20000                                     // 000000002194: BE8F00FF 00020000
	s_mov_b32 s19, 0x20000                                     // 00000000219C: BE9300FF 00020000
	s_and_b32 s13, s13, 0xffff                                 // 0000000021A4: 860DFF0D 0000FFFF
	s_and_b32 s17, s17, 0xffff                                 // 0000000021AC: 8611FF11 0000FFFF
	s_or_b32 s13, s13, 0x40000                                 // 0000000021B4: 870DFF0D 00040000
	s_or_b32 s17, s17, 0x40000                                 // 0000000021BC: 8711FF11 00040000
	v_mov_b32_e32 v43, 0                                       // 0000000021C4: 7E560280
	s_mov_b32 s22, s16                                         // 0000000021C8: BE960010
	s_mov_b32 s23, s17                                         // 0000000021CC: BE970011
	s_mov_b32 s20, s12                                         // 0000000021D0: BE94000C
	s_mov_b32 s21, s13                                         // 0000000021D4: BE95000D
	s_add_u32 s31, s30, 15                                     // 0000000021D8: 801F8F1E
	s_lshr_b32 s31, s31, 4                                     // 0000000021DC: 8F1F841F
	s_lshl_b32 s31, s31, 4                                     // 0000000021E0: 8E1F841F
	s_mul_i32 s25, s8, 64                                      // 0000000021E4: 9219C008
	s_mul_i32 s25, s2, s25                                     // 0000000021E8: 92191902
	s_mul_i32 s26, s3, s6                                      // 0000000021EC: 921A0603
	s_mul_i32 s27, s4, s7                                      // 0000000021F0: 921B0704
	s_mul_hi_u32 s29, s4, s7                                   // 0000000021F4: 961D0704
	s_add_u32 s26, s25, s26                                    // 0000000021F8: 801A1A19
	s_add_u32 s26, s26, s27                                    // 0000000021FC: 801A1B1A
	s_addc_u32 s29, s29, 0                                     // 000000002200: 821D801D
	s_mul_i32 s27, s31, s8                                     // 000000002204: 921B081F
	s_sub_i32 s27, s27, s25                                    // 000000002208: 819B191B
	s_mov_b32 s14, s27                                         // 00000000220C: BE8E001B
	s_add_u32 s12, s26, s20                                    // 000000002210: 800C141A
	s_addc_u32 s13, s29, s21                                   // 000000002214: 820D151D
	s_mul_i32 s25, s11, 64                                     // 000000002218: 9219C00B
	s_mul_i32 s25, s2, s25                                     // 00000000221C: 92191902
	s_mul_i32 s26, s3, s9                                      // 000000002220: 921A0903
	s_mul_i32 s27, s4, s10                                     // 000000002224: 921B0A04
	s_mul_hi_u32 s28, s4, s10                                  // 000000002228: 961C0A04
	s_add_u32 s26, s25, s26                                    // 00000000222C: 801A1A19
	s_add_u32 s26, s26, s27                                    // 000000002230: 801A1B1A
	s_addc_u32 s28, s28, 0                                     // 000000002234: 821C801C
	s_mul_i32 s27, s30, s11                                    // 000000002238: 921B0B1E
	s_sub_i32 s27, s27, s25                                    // 00000000223C: 819B191B
	s_mov_b32 s18, s27                                         // 000000002240: BE92001B
	s_add_u32 s16, s26, s22                                    // 000000002244: 8010161A
	s_addc_u32 s17, s28, s23                                   // 000000002248: 8211171C
	v_readfirstlane_b32 s24, v3                                // 00000000224C: 7E300503
	v_mov_b32_e32 v40, v0                                      // 000000002250: 7E500300
	v_lshlrev_b32_e32 v40, 1, v40                              // 000000002254: 24505081
	v_cmp_lt_u32_e64 s[34:35], v40, s32                        // 000000002258: D0C90022 00004128
	v_mov_b32_e32 v4, 0                                        // 000000002260: 7E080280
	v_lshrrev_b32_e32 v40, 3, v0                               // 000000002264: 20500083
	v_mul_i32_i24_e32 v40, s8, v40                             // 000000002268: 0C505008
	v_lshlrev_b32_e32 v40, 1, v40                              // 00000000226C: 24505081
	v_and_b32_e32 v41, 7, v0                                   // 000000002270: 26520087
	v_lshrrev_b32_e32 v41, 1, v41                              // 000000002274: 20525281
	v_mul_i32_i24_e32 v41, 64, v41                             // 000000002278: 0C5252C0
	v_and_b32_e32 v42, 1, v0                                   // 00000000227C: 26540081
	v_mul_i32_i24_e32 v42, s8, v42                             // 000000002280: 0C545408
	v_add_u32_e32 v4, v40, v4                                  // 000000002284: 68080928
	v_add_u32_e32 v4, v41, v4                                  // 000000002288: 68080929
	v_add_u32_e32 v4, v42, v4                                  // 00000000228C: 6808092A
	s_mul_i32 s25, 16, s8                                      // 000000002290: 92190890
	s_mul_i32 s25, s24, s25                                    // 000000002294: 92191918
	v_add_u32_e32 v4, s25, v4                                  // 000000002298: 68080819
	v_add_u32_e32 v5, 16, v4                                   // 00000000229C: 680A0890
	v_add_u32_e32 v6, 16, v5                                   // 0000000022A0: 680C0A90
	v_add_u32_e32 v7, 16, v6                                   // 0000000022A4: 680E0C90
	v_mov_b32_e32 v8, v0                                       // 0000000022A8: 7E100300
	s_mul_i32 s25, 16, s11                                     // 0000000022AC: 92190B90
	s_mul_i32 s25, s24, s25                                    // 0000000022B0: 92191918
	v_lshlrev_b32_e32 v8, 2, v8                                // 0000000022B4: 24101082
	v_add_u32_e32 v8, s25, v8                                  // 0000000022B8: 68101019
	v_add_u32_e32 v9, s11, v8                                  // 0000000022BC: 6812100B
	v_add_u32_e32 v10, s11, v9                                 // 0000000022C0: 6814120B
	v_add_u32_e32 v11, s11, v10                                // 0000000022C4: 6816140B
	v_add_u32_e32 v12, s11, v11                                // 0000000022C8: 6818160B
	v_add_u32_e32 v13, s11, v12                                // 0000000022CC: 681A180B
	v_add_u32_e32 v14, s11, v13                                // 0000000022D0: 681C1A0B
	v_add_u32_e32 v15, s11, v14                                // 0000000022D4: 681E1C0B
	v_add_u32_e32 v16, s11, v15                                // 0000000022D8: 68201E0B
	v_add_u32_e32 v17, s11, v16                                // 0000000022DC: 6822200B
	v_add_u32_e32 v18, s11, v17                                // 0000000022E0: 6824220B
	v_add_u32_e32 v19, s11, v18                                // 0000000022E4: 6826240B
	v_add_u32_e32 v20, s11, v19                                // 0000000022E8: 6828260B
	v_add_u32_e32 v21, s11, v20                                // 0000000022EC: 682A280B
	v_add_u32_e32 v22, s11, v21                                // 0000000022F0: 682C2A0B
	v_add_u32_e32 v23, s11, v22                                // 0000000022F4: 682E2C0B
	buffer_load_dwordx4 v[24:27], v4, s[12:15], 0 offen        // 0000000022F8: E05C1000 80031804
	buffer_load_dwordx4 v[28:31], v5, s[12:15], 0 offen        // 000000002300: E05C1000 80031C05
	buffer_load_dwordx4 v[32:35], v6, s[12:15], 0 offen        // 000000002308: E05C1000 80032006
	buffer_load_dwordx4 v[36:39], v7, s[12:15], 0 offen        // 000000002310: E05C1000 80032407
	s_waitcnt vmcnt(0) expcnt(0) lgkmcnt(0)                    // 000000002318: BF8C0000
	s_barrier                                                  // 00000000231C: BF8A0000
	s_mov_b64 exec, s[34:35]                                   // 000000002320: BEFE0122
	buffer_store_dword v24, v8, s[16:19], 0 offen              // 000000002324: E0701000 80041808
	buffer_store_dword v25, v9, s[16:19], 0 offen              // 00000000232C: E0701000 80041909
	buffer_store_dword v26, v10, s[16:19], 0 offen             // 000000002334: E0701000 80041A0A
	buffer_store_dword v27, v11, s[16:19], 0 offen             // 00000000233C: E0701000 80041B0B
	buffer_store_dword v28, v12, s[16:19], 0 offen             // 000000002344: E0701000 80041C0C
	buffer_store_dword v29, v13, s[16:19], 0 offen             // 00000000234C: E0701000 80041D0D
	buffer_store_dword v30, v14, s[16:19], 0 offen             // 000000002354: E0701000 80041E0E
	buffer_store_dword v31, v15, s[16:19], 0 offen             // 00000000235C: E0701000 80041F0F
	buffer_store_dword v32, v16, s[16:19], 0 offen             // 000000002364: E0701000 80042010
	buffer_store_dword v33, v17, s[16:19], 0 offen             // 00000000236C: E0701000 80042111
	buffer_store_dword v34, v18, s[16:19], 0 offen             // 000000002374: E0701000 80042212
	buffer_store_dword v35, v19, s[16:19], 0 offen             // 00000000237C: E0701000 80042313
	buffer_store_dword v36, v20, s[16:19], 0 offen             // 000000002384: E0701000 80042414
	buffer_store_dword v37, v21, s[16:19], 0 offen             // 00000000238C: E0701000 80042515
	buffer_store_dword v38, v22, s[16:19], 0 offen             // 000000002394: E0701000 80042616
	buffer_store_dword v39, v23, s[16:19], 0 offen             // 00000000239C: E0701000 80042717
	s_mov_b32 exec_lo, -1                                      // 0000000023A4: BEFE00C1
	s_mov_b32 exec_hi, -1                                      // 0000000023A8: BEFF00C1
	s_waitcnt vmcnt(0) expcnt(0) lgkmcnt(0)                    // 0000000023AC: BF8C0000
	s_endpgm                                                   // 0000000023B0: BF810000
